;; amdgpu-corpus repo=ggml-org/llama.cpp kind=compiled arch=gfx906 opt=O3
	.amdgcn_target "amdgcn-amd-amdhsa--gfx906"
	.amdhsa_code_object_version 6
	.section	.text._ZL7acc_f32PKfS0_Pflllllllll,"axG",@progbits,_ZL7acc_f32PKfS0_Pflllllllll,comdat
	.globl	_ZL7acc_f32PKfS0_Pflllllllll    ; -- Begin function _ZL7acc_f32PKfS0_Pflllllllll
	.p2align	8
	.type	_ZL7acc_f32PKfS0_Pflllllllll,@function
_ZL7acc_f32PKfS0_Pflllllllll:           ; @_ZL7acc_f32PKfS0_Pflllllllll
; %bb.0:
	s_load_dword s0, s[4:5], 0x6c
	s_load_dwordx16 s[8:23], s[4:5], 0x0
	v_mov_b32_e32 v3, 0
	s_waitcnt lgkmcnt(0)
	s_and_b32 s0, s0, 0xffff
	s_mul_i32 s6, s6, s0
	v_add_u32_e32 v2, s6, v0
	v_cmp_gt_i64_e32 vcc, s[14:15], v[2:3]
	s_and_saveexec_b64 s[0:1], vcc
	s_cbranch_execz .LBB0_16
; %bb.1:
	s_load_dwordx8 s[24:31], s[4:5], 0x40
	v_mov_b32_e32 v4, v3
	s_waitcnt lgkmcnt(0)
	v_mov_b32_e32 v1, s31
	v_subrev_co_u32_e32 v0, vcc, s30, v2
	v_subb_co_u32_e32 v1, vcc, 0, v1, vcc
	v_or_b32_e32 v5, s29, v1
	v_cmp_ne_u64_e32 vcc, 0, v[4:5]
                                        ; implicit-def: $vgpr4_vgpr5
	s_and_saveexec_b64 s[0:1], vcc
	s_xor_b64 s[2:3], exec, s[0:1]
	s_cbranch_execz .LBB0_3
; %bb.2:
	s_ashr_i32 s4, s29, 31
	s_add_u32 s0, s28, s4
	s_mov_b32 s5, s4
	s_addc_u32 s1, s29, s4
	s_xor_b64 s[6:7], s[0:1], s[4:5]
	v_cvt_f32_u32_e32 v4, s6
	v_cvt_f32_u32_e32 v5, s7
	s_sub_u32 s5, 0, s6
	s_subb_u32 s14, 0, s7
	v_ashrrev_i32_e32 v8, 31, v1
	v_madmk_f32 v4, v5, 0x4f800000, v4
	v_rcp_f32_e32 v4, v4
	v_mul_f32_e32 v4, 0x5f7ffffc, v4
	v_mul_f32_e32 v5, 0x2f800000, v4
	v_trunc_f32_e32 v5, v5
	v_madmk_f32 v4, v5, 0xcf800000, v4
	v_cvt_u32_f32_e32 v5, v5
	v_cvt_u32_f32_e32 v4, v4
	v_readfirstlane_b32 s15, v5
	v_readfirstlane_b32 s0, v4
	s_mul_i32 s1, s5, s15
	s_mul_hi_u32 s31, s5, s0
	s_mul_i32 s30, s14, s0
	s_add_i32 s1, s31, s1
	s_add_i32 s1, s1, s30
	s_mul_i32 s33, s5, s0
	s_mul_i32 s31, s0, s1
	s_mul_hi_u32 s34, s0, s33
	s_mul_hi_u32 s30, s0, s1
	s_add_u32 s31, s34, s31
	s_addc_u32 s30, 0, s30
	s_mul_hi_u32 s35, s15, s33
	s_mul_i32 s33, s15, s33
	s_add_u32 s31, s31, s33
	s_mul_hi_u32 s34, s15, s1
	s_addc_u32 s30, s30, s35
	s_addc_u32 s31, s34, 0
	s_mul_i32 s1, s15, s1
	s_add_u32 s1, s30, s1
	s_addc_u32 s30, 0, s31
	s_add_u32 s31, s0, s1
	s_cselect_b64 s[0:1], -1, 0
	s_cmp_lg_u64 s[0:1], 0
	s_addc_u32 s15, s15, s30
	s_mul_i32 s0, s5, s15
	s_mul_hi_u32 s1, s5, s31
	s_add_i32 s0, s1, s0
	s_mul_i32 s14, s14, s31
	s_add_i32 s0, s0, s14
	s_mul_i32 s5, s5, s31
	s_mul_hi_u32 s14, s15, s5
	s_mul_i32 s30, s15, s5
	s_mul_i32 s34, s31, s0
	s_mul_hi_u32 s5, s31, s5
	s_mul_hi_u32 s33, s31, s0
	s_add_u32 s5, s5, s34
	s_addc_u32 s33, 0, s33
	s_add_u32 s5, s5, s30
	s_mul_hi_u32 s1, s15, s0
	s_addc_u32 s5, s33, s14
	s_addc_u32 s1, s1, 0
	s_mul_i32 s0, s15, s0
	s_add_u32 s0, s5, s0
	s_addc_u32 s5, 0, s1
	s_add_u32 s14, s31, s0
	s_cselect_b64 s[0:1], -1, 0
	s_cmp_lg_u64 s[0:1], 0
	v_add_co_u32_e32 v4, vcc, v0, v8
	s_addc_u32 s5, s15, s5
	v_xor_b32_e32 v9, v4, v8
	v_mad_u64_u32 v[4:5], s[0:1], v9, s5, 0
	v_mul_hi_u32 v7, v9, s14
	v_addc_co_u32_e32 v6, vcc, v1, v8, vcc
	v_xor_b32_e32 v10, v6, v8
	v_add_co_u32_e32 v11, vcc, v7, v4
	v_addc_co_u32_e32 v12, vcc, 0, v5, vcc
	v_mad_u64_u32 v[4:5], s[0:1], v10, s14, 0
	v_mad_u64_u32 v[6:7], s[0:1], v10, s5, 0
	v_add_co_u32_e32 v4, vcc, v11, v4
	v_addc_co_u32_e32 v4, vcc, v12, v5, vcc
	v_addc_co_u32_e32 v5, vcc, 0, v7, vcc
	v_add_co_u32_e32 v6, vcc, v4, v6
	v_addc_co_u32_e32 v7, vcc, 0, v5, vcc
	v_mul_lo_u32 v11, s7, v6
	v_mul_lo_u32 v12, s6, v7
	v_mad_u64_u32 v[4:5], s[0:1], s6, v6, 0
	v_add3_u32 v5, v5, v12, v11
	v_sub_u32_e32 v11, v10, v5
	v_mov_b32_e32 v12, s7
	v_sub_co_u32_e32 v4, vcc, v9, v4
	v_subb_co_u32_e64 v9, s[0:1], v11, v12, vcc
	v_subrev_co_u32_e64 v11, s[0:1], s6, v4
	v_subbrev_co_u32_e64 v9, s[0:1], 0, v9, s[0:1]
	v_cmp_le_u32_e64 s[0:1], s7, v9
	v_cndmask_b32_e64 v12, 0, -1, s[0:1]
	v_cmp_le_u32_e64 s[0:1], s6, v11
	v_cndmask_b32_e64 v11, 0, -1, s[0:1]
	v_cmp_eq_u32_e64 s[0:1], s7, v9
	v_cndmask_b32_e64 v9, v12, v11, s[0:1]
	v_add_co_u32_e64 v11, s[0:1], 2, v6
	v_subb_co_u32_e32 v5, vcc, v10, v5, vcc
	v_addc_co_u32_e64 v12, s[0:1], 0, v7, s[0:1]
	v_cmp_le_u32_e32 vcc, s7, v5
	v_add_co_u32_e64 v13, s[0:1], 1, v6
	v_cndmask_b32_e64 v10, 0, -1, vcc
	v_cmp_le_u32_e32 vcc, s6, v4
	v_addc_co_u32_e64 v14, s[0:1], 0, v7, s[0:1]
	v_cndmask_b32_e64 v4, 0, -1, vcc
	v_cmp_eq_u32_e32 vcc, s7, v5
	v_cmp_ne_u32_e64 s[0:1], 0, v9
	v_cndmask_b32_e32 v4, v10, v4, vcc
	v_cndmask_b32_e64 v9, v14, v12, s[0:1]
	v_cmp_ne_u32_e32 vcc, 0, v4
	v_cndmask_b32_e64 v5, v13, v11, s[0:1]
	v_cndmask_b32_e32 v4, v7, v9, vcc
	v_cndmask_b32_e32 v5, v6, v5, vcc
	v_xor_b32_e32 v6, s4, v8
	v_xor_b32_e32 v7, v4, v6
	;; [unrolled: 1-line block ×3, first 2 shown]
	v_sub_co_u32_e32 v4, vcc, v4, v6
	v_subb_co_u32_e32 v5, vcc, v7, v6, vcc
.LBB0_3:
	s_andn2_saveexec_b64 s[0:1], s[2:3]
	s_cbranch_execz .LBB0_5
; %bb.4:
	v_cvt_f32_u32_e32 v4, s28
	s_sub_i32 s2, 0, s28
	v_rcp_iflag_f32_e32 v4, v4
	v_mul_f32_e32 v4, 0x4f7ffffe, v4
	v_cvt_u32_f32_e32 v4, v4
	v_mul_lo_u32 v5, s2, v4
	v_mul_hi_u32 v5, v4, v5
	v_add_u32_e32 v4, v4, v5
	v_mul_hi_u32 v4, v0, v4
	v_mul_lo_u32 v5, v4, s28
	v_add_u32_e32 v6, 1, v4
	v_sub_u32_e32 v5, v0, v5
	v_subrev_u32_e32 v7, s28, v5
	v_cmp_le_u32_e32 vcc, s28, v5
	v_cndmask_b32_e32 v5, v5, v7, vcc
	v_cndmask_b32_e32 v4, v4, v6, vcc
	v_add_u32_e32 v6, 1, v4
	v_cmp_le_u32_e32 vcc, s28, v5
	v_cndmask_b32_e32 v4, v4, v6, vcc
	v_mov_b32_e32 v5, 0
.LBB0_5:
	s_or_b64 exec, exec, s[0:1]
	v_mul_lo_u32 v8, v5, s28
	v_mul_lo_u32 v9, v4, s29
	v_mad_u64_u32 v[6:7], s[0:1], v4, s28, 0
	v_add3_u32 v7, v7, v9, v8
	v_sub_co_u32_e32 v8, vcc, v0, v6
	v_subb_co_u32_e32 v9, vcc, v1, v7, vcc
	v_or_b32_e32 v7, s27, v9
	v_mov_b32_e32 v6, 0
	v_cmp_ne_u64_e32 vcc, 0, v[6:7]
                                        ; implicit-def: $vgpr6_vgpr7
	s_and_saveexec_b64 s[0:1], vcc
	s_xor_b64 s[2:3], exec, s[0:1]
	s_cbranch_execz .LBB0_7
; %bb.6:
	s_ashr_i32 s4, s27, 31
	s_add_u32 s0, s26, s4
	s_mov_b32 s5, s4
	s_addc_u32 s1, s27, s4
	s_xor_b64 s[6:7], s[0:1], s[4:5]
	v_cvt_f32_u32_e32 v6, s6
	v_cvt_f32_u32_e32 v7, s7
	s_sub_u32 s5, 0, s6
	s_subb_u32 s14, 0, s7
	v_ashrrev_i32_e32 v12, 31, v9
	v_madmk_f32 v6, v7, 0x4f800000, v6
	v_rcp_f32_e32 v6, v6
	v_mul_f32_e32 v6, 0x5f7ffffc, v6
	v_mul_f32_e32 v7, 0x2f800000, v6
	v_trunc_f32_e32 v7, v7
	v_madmk_f32 v6, v7, 0xcf800000, v6
	v_cvt_u32_f32_e32 v7, v7
	v_cvt_u32_f32_e32 v6, v6
	v_readfirstlane_b32 s15, v7
	v_readfirstlane_b32 s0, v6
	s_mul_i32 s1, s5, s15
	s_mul_hi_u32 s29, s5, s0
	s_mul_i32 s28, s14, s0
	s_add_i32 s1, s29, s1
	s_add_i32 s1, s1, s28
	s_mul_i32 s30, s5, s0
	s_mul_i32 s29, s0, s1
	s_mul_hi_u32 s31, s0, s30
	s_mul_hi_u32 s28, s0, s1
	s_add_u32 s29, s31, s29
	s_addc_u32 s28, 0, s28
	s_mul_hi_u32 s33, s15, s30
	s_mul_i32 s30, s15, s30
	s_add_u32 s29, s29, s30
	s_mul_hi_u32 s31, s15, s1
	s_addc_u32 s28, s28, s33
	s_addc_u32 s29, s31, 0
	s_mul_i32 s1, s15, s1
	s_add_u32 s1, s28, s1
	s_addc_u32 s28, 0, s29
	s_add_u32 s29, s0, s1
	s_cselect_b64 s[0:1], -1, 0
	s_cmp_lg_u64 s[0:1], 0
	s_addc_u32 s15, s15, s28
	s_mul_i32 s0, s5, s15
	s_mul_hi_u32 s1, s5, s29
	s_add_i32 s0, s1, s0
	s_mul_i32 s14, s14, s29
	s_add_i32 s0, s0, s14
	s_mul_i32 s5, s5, s29
	s_mul_hi_u32 s14, s15, s5
	s_mul_i32 s28, s15, s5
	s_mul_i32 s31, s29, s0
	s_mul_hi_u32 s5, s29, s5
	s_mul_hi_u32 s30, s29, s0
	s_add_u32 s5, s5, s31
	s_addc_u32 s30, 0, s30
	s_add_u32 s5, s5, s28
	s_mul_hi_u32 s1, s15, s0
	s_addc_u32 s5, s30, s14
	s_addc_u32 s1, s1, 0
	s_mul_i32 s0, s15, s0
	s_add_u32 s0, s5, s0
	s_addc_u32 s5, 0, s1
	s_add_u32 s14, s29, s0
	s_cselect_b64 s[0:1], -1, 0
	s_cmp_lg_u64 s[0:1], 0
	v_add_co_u32_e32 v6, vcc, v8, v12
	s_addc_u32 s5, s15, s5
	v_xor_b32_e32 v13, v6, v12
	v_mad_u64_u32 v[6:7], s[0:1], v13, s5, 0
	v_mul_hi_u32 v11, v13, s14
	v_addc_co_u32_e32 v10, vcc, v9, v12, vcc
	v_xor_b32_e32 v14, v10, v12
	v_add_co_u32_e32 v15, vcc, v11, v6
	v_addc_co_u32_e32 v16, vcc, 0, v7, vcc
	v_mad_u64_u32 v[6:7], s[0:1], v14, s14, 0
	v_mad_u64_u32 v[10:11], s[0:1], v14, s5, 0
	v_add_co_u32_e32 v6, vcc, v15, v6
	v_addc_co_u32_e32 v6, vcc, v16, v7, vcc
	v_addc_co_u32_e32 v7, vcc, 0, v11, vcc
	v_add_co_u32_e32 v10, vcc, v6, v10
	v_addc_co_u32_e32 v11, vcc, 0, v7, vcc
	v_mul_lo_u32 v15, s7, v10
	v_mul_lo_u32 v16, s6, v11
	v_mad_u64_u32 v[6:7], s[0:1], s6, v10, 0
	v_add3_u32 v7, v7, v16, v15
	v_sub_u32_e32 v15, v14, v7
	v_mov_b32_e32 v16, s7
	v_sub_co_u32_e32 v6, vcc, v13, v6
	v_subb_co_u32_e64 v13, s[0:1], v15, v16, vcc
	v_subrev_co_u32_e64 v15, s[0:1], s6, v6
	v_subbrev_co_u32_e64 v13, s[0:1], 0, v13, s[0:1]
	v_cmp_le_u32_e64 s[0:1], s7, v13
	v_cndmask_b32_e64 v16, 0, -1, s[0:1]
	v_cmp_le_u32_e64 s[0:1], s6, v15
	v_cndmask_b32_e64 v15, 0, -1, s[0:1]
	v_cmp_eq_u32_e64 s[0:1], s7, v13
	v_cndmask_b32_e64 v13, v16, v15, s[0:1]
	v_add_co_u32_e64 v15, s[0:1], 2, v10
	v_subb_co_u32_e32 v7, vcc, v14, v7, vcc
	v_addc_co_u32_e64 v16, s[0:1], 0, v11, s[0:1]
	v_cmp_le_u32_e32 vcc, s7, v7
	v_add_co_u32_e64 v17, s[0:1], 1, v10
	v_cndmask_b32_e64 v14, 0, -1, vcc
	v_cmp_le_u32_e32 vcc, s6, v6
	v_addc_co_u32_e64 v18, s[0:1], 0, v11, s[0:1]
	v_cndmask_b32_e64 v6, 0, -1, vcc
	v_cmp_eq_u32_e32 vcc, s7, v7
	v_cmp_ne_u32_e64 s[0:1], 0, v13
	v_cndmask_b32_e32 v6, v14, v6, vcc
	v_cndmask_b32_e64 v13, v18, v16, s[0:1]
	v_cmp_ne_u32_e32 vcc, 0, v6
	v_cndmask_b32_e64 v7, v17, v15, s[0:1]
	v_cndmask_b32_e32 v6, v11, v13, vcc
	v_cndmask_b32_e32 v7, v10, v7, vcc
	v_xor_b32_e32 v10, s4, v12
	v_xor_b32_e32 v11, v6, v10
	v_xor_b32_e32 v6, v7, v10
	v_sub_co_u32_e32 v6, vcc, v6, v10
	v_subb_co_u32_e32 v7, vcc, v11, v10, vcc
.LBB0_7:
	s_andn2_saveexec_b64 s[0:1], s[2:3]
	s_cbranch_execz .LBB0_9
; %bb.8:
	v_cvt_f32_u32_e32 v6, s26
	s_sub_i32 s2, 0, s26
	v_rcp_iflag_f32_e32 v6, v6
	v_mul_f32_e32 v6, 0x4f7ffffe, v6
	v_cvt_u32_f32_e32 v6, v6
	v_mul_lo_u32 v7, s2, v6
	v_mul_hi_u32 v7, v6, v7
	v_add_u32_e32 v6, v6, v7
	v_mul_hi_u32 v6, v8, v6
	v_mul_lo_u32 v7, v6, s26
	v_add_u32_e32 v10, 1, v6
	v_sub_u32_e32 v7, v8, v7
	v_subrev_u32_e32 v11, s26, v7
	v_cmp_le_u32_e32 vcc, s26, v7
	v_cndmask_b32_e32 v7, v7, v11, vcc
	v_cndmask_b32_e32 v6, v6, v10, vcc
	v_add_u32_e32 v10, 1, v6
	v_cmp_le_u32_e32 vcc, s26, v7
	v_cndmask_b32_e32 v6, v6, v10, vcc
	v_mov_b32_e32 v7, 0
.LBB0_9:
	s_or_b64 exec, exec, s[0:1]
	v_mul_lo_u32 v12, v7, s26
	v_mul_lo_u32 v13, v6, s27
	v_mad_u64_u32 v[10:11], s[0:1], v6, s26, 0
	v_add3_u32 v11, v11, v13, v12
	v_sub_co_u32_e32 v10, vcc, v8, v10
	v_subb_co_u32_e32 v11, vcc, v9, v11, vcc
	v_or_b32_e32 v9, s25, v11
	v_mov_b32_e32 v8, 0
	v_cmp_ne_u64_e32 vcc, 0, v[8:9]
                                        ; implicit-def: $vgpr8_vgpr9
	s_and_saveexec_b64 s[0:1], vcc
	s_xor_b64 s[2:3], exec, s[0:1]
	s_cbranch_execz .LBB0_11
; %bb.10:
	s_ashr_i32 s4, s25, 31
	s_add_u32 s0, s24, s4
	s_mov_b32 s5, s4
	s_addc_u32 s1, s25, s4
	s_xor_b64 s[6:7], s[0:1], s[4:5]
	v_cvt_f32_u32_e32 v8, s6
	v_cvt_f32_u32_e32 v9, s7
	s_sub_u32 s5, 0, s6
	s_subb_u32 s14, 0, s7
	v_ashrrev_i32_e32 v14, 31, v11
	v_madmk_f32 v8, v9, 0x4f800000, v8
	v_rcp_f32_e32 v8, v8
	v_mul_f32_e32 v8, 0x5f7ffffc, v8
	v_mul_f32_e32 v9, 0x2f800000, v8
	v_trunc_f32_e32 v9, v9
	v_madmk_f32 v8, v9, 0xcf800000, v8
	v_cvt_u32_f32_e32 v9, v9
	v_cvt_u32_f32_e32 v8, v8
	v_readfirstlane_b32 s15, v9
	v_readfirstlane_b32 s0, v8
	s_mul_i32 s1, s5, s15
	s_mul_hi_u32 s27, s5, s0
	s_mul_i32 s26, s14, s0
	s_add_i32 s1, s27, s1
	s_add_i32 s1, s1, s26
	s_mul_i32 s28, s5, s0
	s_mul_i32 s27, s0, s1
	s_mul_hi_u32 s29, s0, s28
	s_mul_hi_u32 s26, s0, s1
	s_add_u32 s27, s29, s27
	s_addc_u32 s26, 0, s26
	s_mul_hi_u32 s30, s15, s28
	s_mul_i32 s28, s15, s28
	s_add_u32 s27, s27, s28
	s_mul_hi_u32 s29, s15, s1
	s_addc_u32 s26, s26, s30
	s_addc_u32 s27, s29, 0
	s_mul_i32 s1, s15, s1
	s_add_u32 s1, s26, s1
	s_addc_u32 s26, 0, s27
	s_add_u32 s27, s0, s1
	s_cselect_b64 s[0:1], -1, 0
	s_cmp_lg_u64 s[0:1], 0
	s_addc_u32 s15, s15, s26
	s_mul_i32 s0, s5, s15
	s_mul_hi_u32 s1, s5, s27
	s_add_i32 s0, s1, s0
	s_mul_i32 s14, s14, s27
	s_add_i32 s0, s0, s14
	s_mul_i32 s5, s5, s27
	s_mul_hi_u32 s14, s15, s5
	s_mul_i32 s26, s15, s5
	s_mul_i32 s29, s27, s0
	s_mul_hi_u32 s5, s27, s5
	s_mul_hi_u32 s28, s27, s0
	s_add_u32 s5, s5, s29
	s_addc_u32 s28, 0, s28
	s_add_u32 s5, s5, s26
	s_mul_hi_u32 s1, s15, s0
	s_addc_u32 s5, s28, s14
	s_addc_u32 s1, s1, 0
	s_mul_i32 s0, s15, s0
	s_add_u32 s0, s5, s0
	s_addc_u32 s5, 0, s1
	s_add_u32 s14, s27, s0
	s_cselect_b64 s[0:1], -1, 0
	s_cmp_lg_u64 s[0:1], 0
	v_add_co_u32_e32 v8, vcc, v10, v14
	s_addc_u32 s5, s15, s5
	v_xor_b32_e32 v15, v8, v14
	v_mad_u64_u32 v[8:9], s[0:1], v15, s5, 0
	v_mul_hi_u32 v13, v15, s14
	v_addc_co_u32_e32 v12, vcc, v11, v14, vcc
	v_xor_b32_e32 v16, v12, v14
	v_add_co_u32_e32 v17, vcc, v13, v8
	v_addc_co_u32_e32 v18, vcc, 0, v9, vcc
	v_mad_u64_u32 v[8:9], s[0:1], v16, s14, 0
	v_mad_u64_u32 v[12:13], s[0:1], v16, s5, 0
	v_add_co_u32_e32 v8, vcc, v17, v8
	v_addc_co_u32_e32 v8, vcc, v18, v9, vcc
	v_addc_co_u32_e32 v9, vcc, 0, v13, vcc
	v_add_co_u32_e32 v12, vcc, v8, v12
	v_addc_co_u32_e32 v13, vcc, 0, v9, vcc
	v_mul_lo_u32 v17, s7, v12
	v_mul_lo_u32 v18, s6, v13
	v_mad_u64_u32 v[8:9], s[0:1], s6, v12, 0
	v_add3_u32 v9, v9, v18, v17
	v_sub_u32_e32 v17, v16, v9
	v_mov_b32_e32 v18, s7
	v_sub_co_u32_e32 v8, vcc, v15, v8
	v_subb_co_u32_e64 v15, s[0:1], v17, v18, vcc
	v_subrev_co_u32_e64 v17, s[0:1], s6, v8
	v_subbrev_co_u32_e64 v15, s[0:1], 0, v15, s[0:1]
	v_cmp_le_u32_e64 s[0:1], s7, v15
	v_cndmask_b32_e64 v18, 0, -1, s[0:1]
	v_cmp_le_u32_e64 s[0:1], s6, v17
	v_cndmask_b32_e64 v17, 0, -1, s[0:1]
	v_cmp_eq_u32_e64 s[0:1], s7, v15
	v_cndmask_b32_e64 v15, v18, v17, s[0:1]
	v_add_co_u32_e64 v17, s[0:1], 2, v12
	v_subb_co_u32_e32 v9, vcc, v16, v9, vcc
	v_addc_co_u32_e64 v18, s[0:1], 0, v13, s[0:1]
	v_cmp_le_u32_e32 vcc, s7, v9
	v_add_co_u32_e64 v19, s[0:1], 1, v12
	v_cndmask_b32_e64 v16, 0, -1, vcc
	v_cmp_le_u32_e32 vcc, s6, v8
	v_addc_co_u32_e64 v20, s[0:1], 0, v13, s[0:1]
	v_cndmask_b32_e64 v8, 0, -1, vcc
	v_cmp_eq_u32_e32 vcc, s7, v9
	v_cmp_ne_u32_e64 s[0:1], 0, v15
	v_cndmask_b32_e32 v8, v16, v8, vcc
	v_cndmask_b32_e64 v15, v20, v18, s[0:1]
	v_cmp_ne_u32_e32 vcc, 0, v8
	v_cndmask_b32_e64 v9, v19, v17, s[0:1]
	v_cndmask_b32_e32 v8, v13, v15, vcc
	v_cndmask_b32_e32 v9, v12, v9, vcc
	v_xor_b32_e32 v12, s4, v14
	v_xor_b32_e32 v13, v8, v12
	;; [unrolled: 1-line block ×3, first 2 shown]
	v_sub_co_u32_e32 v8, vcc, v8, v12
	v_subb_co_u32_e32 v9, vcc, v13, v12, vcc
.LBB0_11:
	s_andn2_saveexec_b64 s[0:1], s[2:3]
	s_cbranch_execz .LBB0_13
; %bb.12:
	v_cvt_f32_u32_e32 v8, s24
	s_sub_i32 s2, 0, s24
	v_rcp_iflag_f32_e32 v8, v8
	v_mul_f32_e32 v8, 0x4f7ffffe, v8
	v_cvt_u32_f32_e32 v8, v8
	v_mul_lo_u32 v9, s2, v8
	v_mul_hi_u32 v9, v8, v9
	v_add_u32_e32 v8, v8, v9
	v_mul_hi_u32 v8, v10, v8
	v_mul_lo_u32 v9, v8, s24
	v_add_u32_e32 v12, 1, v8
	v_sub_u32_e32 v9, v10, v9
	v_subrev_u32_e32 v13, s24, v9
	v_cmp_le_u32_e32 vcc, s24, v9
	v_cndmask_b32_e32 v9, v9, v13, vcc
	v_cndmask_b32_e32 v8, v8, v12, vcc
	v_add_u32_e32 v12, 1, v8
	v_cmp_le_u32_e32 vcc, s24, v9
	v_cndmask_b32_e32 v8, v8, v12, vcc
	v_mov_b32_e32 v9, 0
.LBB0_13:
	s_or_b64 exec, exec, s[0:1]
	v_lshlrev_b64 v[2:3], 2, v[2:3]
	v_mov_b32_e32 v13, s9
	v_add_co_u32_e32 v12, vcc, s8, v2
	v_addc_co_u32_e32 v13, vcc, v13, v3, vcc
	global_load_dword v12, v[12:13], off
	v_mul_lo_u32 v15, v9, s24
	v_mul_lo_u32 v16, v8, s25
	v_mad_u64_u32 v[13:14], s[0:1], v8, s24, 0
	v_cmp_gt_i64_e64 s[0:1], s[18:19], v[8:9]
	v_cmp_lt_i64_e64 s[2:3], -1, v[0:1]
	v_add3_u32 v14, v14, v16, v15
	v_sub_co_u32_e32 v10, vcc, v10, v13
	v_subb_co_u32_e32 v11, vcc, v11, v14, vcc
	v_cmp_gt_i64_e32 vcc, s[16:17], v[10:11]
	s_and_b64 s[0:1], s[0:1], vcc
	v_cmp_gt_i64_e32 vcc, s[20:21], v[6:7]
	s_and_b64 s[2:3], s[2:3], s[0:1]
	v_cmp_gt_i64_e64 s[0:1], s[22:23], v[4:5]
	s_and_b64 s[2:3], s[2:3], vcc
	s_and_b64 s[2:3], s[0:1], s[2:3]
	s_and_saveexec_b64 s[0:1], s[2:3]
	s_cbranch_execz .LBB0_15
; %bb.14:
	v_mad_u64_u32 v[0:1], s[2:3], v4, s20, v[6:7]
	v_mul_lo_u32 v4, v4, s21
	v_mul_lo_u32 v5, v5, s20
	v_add3_u32 v4, v5, v1, v4
	v_mul_lo_u32 v5, v0, s19
	v_mad_u64_u32 v[0:1], s[2:3], v0, s18, v[8:9]
	v_mul_lo_u32 v4, v4, s18
	v_add3_u32 v4, v4, v1, v5
	v_mul_lo_u32 v5, v0, s17
	v_mad_u64_u32 v[0:1], s[2:3], v0, s16, 0
	v_mul_lo_u32 v4, v4, s16
	v_add3_u32 v1, v1, v5, v4
	v_lshlrev_b64 v[0:1], 2, v[0:1]
	v_mov_b32_e32 v4, s11
	v_add_co_u32_e32 v5, vcc, s10, v0
	v_addc_co_u32_e32 v4, vcc, v4, v1, vcc
	v_lshlrev_b64 v[0:1], 2, v[10:11]
	v_add_co_u32_e32 v0, vcc, v5, v0
	v_addc_co_u32_e32 v1, vcc, v4, v1, vcc
	global_load_dword v0, v[0:1], off
	s_waitcnt vmcnt(0)
	v_add_f32_e32 v12, v12, v0
.LBB0_15:
	s_or_b64 exec, exec, s[0:1]
	v_mov_b32_e32 v1, s13
	v_add_co_u32_e32 v0, vcc, s12, v2
	v_addc_co_u32_e32 v1, vcc, v1, v3, vcc
	s_waitcnt vmcnt(0)
	global_store_dword v[0:1], v12, off
.LBB0_16:
	s_endpgm
	.section	.rodata,"a",@progbits
	.p2align	6, 0x0
	.amdhsa_kernel _ZL7acc_f32PKfS0_Pflllllllll
		.amdhsa_group_segment_fixed_size 0
		.amdhsa_private_segment_fixed_size 0
		.amdhsa_kernarg_size 352
		.amdhsa_user_sgpr_count 6
		.amdhsa_user_sgpr_private_segment_buffer 1
		.amdhsa_user_sgpr_dispatch_ptr 0
		.amdhsa_user_sgpr_queue_ptr 0
		.amdhsa_user_sgpr_kernarg_segment_ptr 1
		.amdhsa_user_sgpr_dispatch_id 0
		.amdhsa_user_sgpr_flat_scratch_init 0
		.amdhsa_user_sgpr_private_segment_size 0
		.amdhsa_uses_dynamic_stack 0
		.amdhsa_system_sgpr_private_segment_wavefront_offset 0
		.amdhsa_system_sgpr_workgroup_id_x 1
		.amdhsa_system_sgpr_workgroup_id_y 0
		.amdhsa_system_sgpr_workgroup_id_z 0
		.amdhsa_system_sgpr_workgroup_info 0
		.amdhsa_system_vgpr_workitem_id 0
		.amdhsa_next_free_vgpr 21
		.amdhsa_next_free_sgpr 36
		.amdhsa_reserve_vcc 1
		.amdhsa_reserve_flat_scratch 0
		.amdhsa_float_round_mode_32 0
		.amdhsa_float_round_mode_16_64 0
		.amdhsa_float_denorm_mode_32 3
		.amdhsa_float_denorm_mode_16_64 3
		.amdhsa_dx10_clamp 1
		.amdhsa_ieee_mode 1
		.amdhsa_fp16_overflow 0
		.amdhsa_exception_fp_ieee_invalid_op 0
		.amdhsa_exception_fp_denorm_src 0
		.amdhsa_exception_fp_ieee_div_zero 0
		.amdhsa_exception_fp_ieee_overflow 0
		.amdhsa_exception_fp_ieee_underflow 0
		.amdhsa_exception_fp_ieee_inexact 0
		.amdhsa_exception_int_div_zero 0
	.end_amdhsa_kernel
	.section	.text._ZL7acc_f32PKfS0_Pflllllllll,"axG",@progbits,_ZL7acc_f32PKfS0_Pflllllllll,comdat
.Lfunc_end0:
	.size	_ZL7acc_f32PKfS0_Pflllllllll, .Lfunc_end0-_ZL7acc_f32PKfS0_Pflllllllll
                                        ; -- End function
	.set _ZL7acc_f32PKfS0_Pflllllllll.num_vgpr, 21
	.set _ZL7acc_f32PKfS0_Pflllllllll.num_agpr, 0
	.set _ZL7acc_f32PKfS0_Pflllllllll.numbered_sgpr, 36
	.set _ZL7acc_f32PKfS0_Pflllllllll.num_named_barrier, 0
	.set _ZL7acc_f32PKfS0_Pflllllllll.private_seg_size, 0
	.set _ZL7acc_f32PKfS0_Pflllllllll.uses_vcc, 1
	.set _ZL7acc_f32PKfS0_Pflllllllll.uses_flat_scratch, 0
	.set _ZL7acc_f32PKfS0_Pflllllllll.has_dyn_sized_stack, 0
	.set _ZL7acc_f32PKfS0_Pflllllllll.has_recursion, 0
	.set _ZL7acc_f32PKfS0_Pflllllllll.has_indirect_call, 0
	.section	.AMDGPU.csdata,"",@progbits
; Kernel info:
; codeLenInByte = 2704
; TotalNumSgprs: 40
; NumVgprs: 21
; ScratchSize: 0
; MemoryBound: 0
; FloatMode: 240
; IeeeMode: 1
; LDSByteSize: 0 bytes/workgroup (compile time only)
; SGPRBlocks: 4
; VGPRBlocks: 5
; NumSGPRsForWavesPerEU: 40
; NumVGPRsForWavesPerEU: 21
; Occupancy: 10
; WaveLimiterHint : 0
; COMPUTE_PGM_RSRC2:SCRATCH_EN: 0
; COMPUTE_PGM_RSRC2:USER_SGPR: 6
; COMPUTE_PGM_RSRC2:TRAP_HANDLER: 0
; COMPUTE_PGM_RSRC2:TGID_X_EN: 1
; COMPUTE_PGM_RSRC2:TGID_Y_EN: 0
; COMPUTE_PGM_RSRC2:TGID_Z_EN: 0
; COMPUTE_PGM_RSRC2:TIDIG_COMP_CNT: 0
	.section	.AMDGPU.gpr_maximums,"",@progbits
	.set amdgpu.max_num_vgpr, 0
	.set amdgpu.max_num_agpr, 0
	.set amdgpu.max_num_sgpr, 0
	.section	.AMDGPU.csdata,"",@progbits
	.type	__hip_cuid_4063603eeac5f58d,@object ; @__hip_cuid_4063603eeac5f58d
	.section	.bss,"aw",@nobits
	.globl	__hip_cuid_4063603eeac5f58d
__hip_cuid_4063603eeac5f58d:
	.byte	0                               ; 0x0
	.size	__hip_cuid_4063603eeac5f58d, 1

	.ident	"AMD clang version 22.0.0git (https://github.com/RadeonOpenCompute/llvm-project roc-7.2.4 26084 f58b06dce1f9c15707c5f808fd002e18c2accf7e)"
	.section	".note.GNU-stack","",@progbits
	.addrsig
	.addrsig_sym __hip_cuid_4063603eeac5f58d
	.amdgpu_metadata
---
amdhsa.kernels:
  - .args:
      - .address_space:  global
        .offset:         0
        .size:           8
        .value_kind:     global_buffer
      - .address_space:  global
        .offset:         8
        .size:           8
        .value_kind:     global_buffer
      - .address_space:  global
        .offset:         16
        .size:           8
        .value_kind:     global_buffer
      - .offset:         24
        .size:           8
        .value_kind:     by_value
      - .offset:         32
        .size:           8
        .value_kind:     by_value
      - .offset:         40
        .size:           8
        .value_kind:     by_value
      - .offset:         48
        .size:           8
        .value_kind:     by_value
      - .offset:         56
        .size:           8
        .value_kind:     by_value
      - .offset:         64
        .size:           8
        .value_kind:     by_value
      - .offset:         72
        .size:           8
        .value_kind:     by_value
      - .offset:         80
        .size:           8
        .value_kind:     by_value
      - .offset:         88
        .size:           8
        .value_kind:     by_value
      - .offset:         96
        .size:           4
        .value_kind:     hidden_block_count_x
      - .offset:         100
        .size:           4
        .value_kind:     hidden_block_count_y
      - .offset:         104
        .size:           4
        .value_kind:     hidden_block_count_z
      - .offset:         108
        .size:           2
        .value_kind:     hidden_group_size_x
      - .offset:         110
        .size:           2
        .value_kind:     hidden_group_size_y
      - .offset:         112
        .size:           2
        .value_kind:     hidden_group_size_z
      - .offset:         114
        .size:           2
        .value_kind:     hidden_remainder_x
      - .offset:         116
        .size:           2
        .value_kind:     hidden_remainder_y
      - .offset:         118
        .size:           2
        .value_kind:     hidden_remainder_z
      - .offset:         136
        .size:           8
        .value_kind:     hidden_global_offset_x
      - .offset:         144
        .size:           8
        .value_kind:     hidden_global_offset_y
      - .offset:         152
        .size:           8
        .value_kind:     hidden_global_offset_z
      - .offset:         160
        .size:           2
        .value_kind:     hidden_grid_dims
    .group_segment_fixed_size: 0
    .kernarg_segment_align: 8
    .kernarg_segment_size: 352
    .language:       OpenCL C
    .language_version:
      - 2
      - 0
    .max_flat_workgroup_size: 1024
    .name:           _ZL7acc_f32PKfS0_Pflllllllll
    .private_segment_fixed_size: 0
    .sgpr_count:     40
    .sgpr_spill_count: 0
    .symbol:         _ZL7acc_f32PKfS0_Pflllllllll.kd
    .uniform_work_group_size: 1
    .uses_dynamic_stack: false
    .vgpr_count:     21
    .vgpr_spill_count: 0
    .wavefront_size: 64
amdhsa.target:   amdgcn-amd-amdhsa--gfx906
amdhsa.version:
  - 1
  - 2
...

	.end_amdgpu_metadata
